;; amdgpu-corpus repo=ROCm/rocFFT kind=compiled arch=gfx1030 opt=O3
	.text
	.amdgcn_target "amdgcn-amd-amdhsa--gfx1030"
	.amdhsa_code_object_version 6
	.protected	fft_rtc_back_len270_factors_10_3_3_3_wgs_108_tpt_27_halfLds_half_ip_CI_sbrr_dirReg ; -- Begin function fft_rtc_back_len270_factors_10_3_3_3_wgs_108_tpt_27_halfLds_half_ip_CI_sbrr_dirReg
	.globl	fft_rtc_back_len270_factors_10_3_3_3_wgs_108_tpt_27_halfLds_half_ip_CI_sbrr_dirReg
	.p2align	8
	.type	fft_rtc_back_len270_factors_10_3_3_3_wgs_108_tpt_27_halfLds_half_ip_CI_sbrr_dirReg,@function
fft_rtc_back_len270_factors_10_3_3_3_wgs_108_tpt_27_halfLds_half_ip_CI_sbrr_dirReg: ; @fft_rtc_back_len270_factors_10_3_3_3_wgs_108_tpt_27_halfLds_half_ip_CI_sbrr_dirReg
; %bb.0:
	s_clause 0x2
	s_load_dwordx2 s[14:15], s[4:5], 0x18
	s_load_dwordx4 s[8:11], s[4:5], 0x0
	s_load_dwordx2 s[12:13], s[4:5], 0x50
	v_mul_u32_u24_e32 v1, 0x97c, v0
	v_mov_b32_e32 v3, 0
	v_lshrrev_b32_e32 v11, 16, v1
	v_mov_b32_e32 v1, 0
	v_mov_b32_e32 v6, v3
	v_mov_b32_e32 v2, 0
	v_lshl_add_u32 v5, s6, 2, v11
	s_waitcnt lgkmcnt(0)
	s_load_dwordx2 s[2:3], s[14:15], 0x0
	v_cmp_lt_u64_e64 s0, s[10:11], 2
	s_and_b32 vcc_lo, exec_lo, s0
	s_cbranch_vccnz .LBB0_8
; %bb.1:
	s_load_dwordx2 s[0:1], s[4:5], 0x10
	v_mov_b32_e32 v1, 0
	s_add_u32 s6, s14, 8
	v_mov_b32_e32 v2, 0
	s_addc_u32 s7, s15, 0
	s_mov_b64 s[18:19], 1
	s_waitcnt lgkmcnt(0)
	s_add_u32 s16, s0, 8
	s_addc_u32 s17, s1, 0
.LBB0_2:                                ; =>This Inner Loop Header: Depth=1
	s_load_dwordx2 s[20:21], s[16:17], 0x0
                                        ; implicit-def: $vgpr7_vgpr8
	s_mov_b32 s0, exec_lo
	s_waitcnt lgkmcnt(0)
	v_or_b32_e32 v4, s21, v6
	v_cmpx_ne_u64_e32 0, v[3:4]
	s_xor_b32 s1, exec_lo, s0
	s_cbranch_execz .LBB0_4
; %bb.3:                                ;   in Loop: Header=BB0_2 Depth=1
	v_cvt_f32_u32_e32 v4, s20
	v_cvt_f32_u32_e32 v7, s21
	s_sub_u32 s0, 0, s20
	s_subb_u32 s22, 0, s21
	v_fmac_f32_e32 v4, 0x4f800000, v7
	v_rcp_f32_e32 v4, v4
	v_mul_f32_e32 v4, 0x5f7ffffc, v4
	v_mul_f32_e32 v7, 0x2f800000, v4
	v_trunc_f32_e32 v7, v7
	v_fmac_f32_e32 v4, 0xcf800000, v7
	v_cvt_u32_f32_e32 v7, v7
	v_cvt_u32_f32_e32 v4, v4
	v_mul_lo_u32 v8, s0, v7
	v_mul_hi_u32 v9, s0, v4
	v_mul_lo_u32 v10, s22, v4
	v_add_nc_u32_e32 v8, v9, v8
	v_mul_lo_u32 v9, s0, v4
	v_add_nc_u32_e32 v8, v8, v10
	v_mul_hi_u32 v10, v4, v9
	v_mul_lo_u32 v12, v4, v8
	v_mul_hi_u32 v13, v4, v8
	v_mul_hi_u32 v14, v7, v9
	v_mul_lo_u32 v9, v7, v9
	v_mul_hi_u32 v15, v7, v8
	v_mul_lo_u32 v8, v7, v8
	v_add_co_u32 v10, vcc_lo, v10, v12
	v_add_co_ci_u32_e32 v12, vcc_lo, 0, v13, vcc_lo
	v_add_co_u32 v9, vcc_lo, v10, v9
	v_add_co_ci_u32_e32 v9, vcc_lo, v12, v14, vcc_lo
	v_add_co_ci_u32_e32 v10, vcc_lo, 0, v15, vcc_lo
	v_add_co_u32 v8, vcc_lo, v9, v8
	v_add_co_ci_u32_e32 v9, vcc_lo, 0, v10, vcc_lo
	v_add_co_u32 v4, vcc_lo, v4, v8
	v_add_co_ci_u32_e32 v7, vcc_lo, v7, v9, vcc_lo
	v_mul_hi_u32 v8, s0, v4
	v_mul_lo_u32 v10, s22, v4
	v_mul_lo_u32 v9, s0, v7
	v_add_nc_u32_e32 v8, v8, v9
	v_mul_lo_u32 v9, s0, v4
	v_add_nc_u32_e32 v8, v8, v10
	v_mul_hi_u32 v10, v4, v9
	v_mul_lo_u32 v12, v4, v8
	v_mul_hi_u32 v13, v4, v8
	v_mul_hi_u32 v14, v7, v9
	v_mul_lo_u32 v9, v7, v9
	v_mul_hi_u32 v15, v7, v8
	v_mul_lo_u32 v8, v7, v8
	v_add_co_u32 v10, vcc_lo, v10, v12
	v_add_co_ci_u32_e32 v12, vcc_lo, 0, v13, vcc_lo
	v_add_co_u32 v9, vcc_lo, v10, v9
	v_add_co_ci_u32_e32 v9, vcc_lo, v12, v14, vcc_lo
	v_add_co_ci_u32_e32 v10, vcc_lo, 0, v15, vcc_lo
	v_add_co_u32 v8, vcc_lo, v9, v8
	v_add_co_ci_u32_e32 v9, vcc_lo, 0, v10, vcc_lo
	v_add_co_u32 v4, vcc_lo, v4, v8
	v_add_co_ci_u32_e32 v12, vcc_lo, v7, v9, vcc_lo
	v_mul_hi_u32 v14, v5, v4
	v_mad_u64_u32 v[9:10], null, v6, v4, 0
	v_mad_u64_u32 v[7:8], null, v5, v12, 0
	;; [unrolled: 1-line block ×3, first 2 shown]
	v_add_co_u32 v4, vcc_lo, v14, v7
	v_add_co_ci_u32_e32 v7, vcc_lo, 0, v8, vcc_lo
	v_add_co_u32 v4, vcc_lo, v4, v9
	v_add_co_ci_u32_e32 v4, vcc_lo, v7, v10, vcc_lo
	v_add_co_ci_u32_e32 v7, vcc_lo, 0, v13, vcc_lo
	v_add_co_u32 v4, vcc_lo, v4, v12
	v_add_co_ci_u32_e32 v9, vcc_lo, 0, v7, vcc_lo
	v_mul_lo_u32 v10, s21, v4
	v_mad_u64_u32 v[7:8], null, s20, v4, 0
	v_mul_lo_u32 v12, s20, v9
	v_sub_co_u32 v7, vcc_lo, v5, v7
	v_add3_u32 v8, v8, v12, v10
	v_sub_nc_u32_e32 v10, v6, v8
	v_subrev_co_ci_u32_e64 v10, s0, s21, v10, vcc_lo
	v_add_co_u32 v12, s0, v4, 2
	v_add_co_ci_u32_e64 v13, s0, 0, v9, s0
	v_sub_co_u32 v14, s0, v7, s20
	v_sub_co_ci_u32_e32 v8, vcc_lo, v6, v8, vcc_lo
	v_subrev_co_ci_u32_e64 v10, s0, 0, v10, s0
	v_cmp_le_u32_e32 vcc_lo, s20, v14
	v_cmp_eq_u32_e64 s0, s21, v8
	v_cndmask_b32_e64 v14, 0, -1, vcc_lo
	v_cmp_le_u32_e32 vcc_lo, s21, v10
	v_cndmask_b32_e64 v15, 0, -1, vcc_lo
	v_cmp_le_u32_e32 vcc_lo, s20, v7
	;; [unrolled: 2-line block ×3, first 2 shown]
	v_cndmask_b32_e64 v16, 0, -1, vcc_lo
	v_cmp_eq_u32_e32 vcc_lo, s21, v10
	v_cndmask_b32_e64 v7, v16, v7, s0
	v_cndmask_b32_e32 v10, v15, v14, vcc_lo
	v_add_co_u32 v14, vcc_lo, v4, 1
	v_add_co_ci_u32_e32 v15, vcc_lo, 0, v9, vcc_lo
	v_cmp_ne_u32_e32 vcc_lo, 0, v10
	v_cndmask_b32_e32 v8, v15, v13, vcc_lo
	v_cndmask_b32_e32 v10, v14, v12, vcc_lo
	v_cmp_ne_u32_e32 vcc_lo, 0, v7
	v_cndmask_b32_e32 v8, v9, v8, vcc_lo
	v_cndmask_b32_e32 v7, v4, v10, vcc_lo
.LBB0_4:                                ;   in Loop: Header=BB0_2 Depth=1
	s_andn2_saveexec_b32 s0, s1
	s_cbranch_execz .LBB0_6
; %bb.5:                                ;   in Loop: Header=BB0_2 Depth=1
	v_cvt_f32_u32_e32 v4, s20
	s_sub_i32 s1, 0, s20
	v_rcp_iflag_f32_e32 v4, v4
	v_mul_f32_e32 v4, 0x4f7ffffe, v4
	v_cvt_u32_f32_e32 v4, v4
	v_mul_lo_u32 v7, s1, v4
	v_mul_hi_u32 v7, v4, v7
	v_add_nc_u32_e32 v4, v4, v7
	v_mul_hi_u32 v4, v5, v4
	v_mul_lo_u32 v7, v4, s20
	v_add_nc_u32_e32 v8, 1, v4
	v_sub_nc_u32_e32 v7, v5, v7
	v_subrev_nc_u32_e32 v9, s20, v7
	v_cmp_le_u32_e32 vcc_lo, s20, v7
	v_cndmask_b32_e32 v7, v7, v9, vcc_lo
	v_cndmask_b32_e32 v4, v4, v8, vcc_lo
	v_cmp_le_u32_e32 vcc_lo, s20, v7
	v_add_nc_u32_e32 v8, 1, v4
	v_cndmask_b32_e32 v7, v4, v8, vcc_lo
	v_mov_b32_e32 v8, v3
.LBB0_6:                                ;   in Loop: Header=BB0_2 Depth=1
	s_or_b32 exec_lo, exec_lo, s0
	s_load_dwordx2 s[0:1], s[6:7], 0x0
	v_mul_lo_u32 v4, v8, s20
	v_mul_lo_u32 v12, v7, s21
	v_mad_u64_u32 v[9:10], null, v7, s20, 0
	s_add_u32 s18, s18, 1
	s_addc_u32 s19, s19, 0
	s_add_u32 s6, s6, 8
	s_addc_u32 s7, s7, 0
	s_add_u32 s16, s16, 8
	s_addc_u32 s17, s17, 0
	v_add3_u32 v4, v10, v12, v4
	v_sub_co_u32 v5, vcc_lo, v5, v9
	v_sub_co_ci_u32_e32 v4, vcc_lo, v6, v4, vcc_lo
	s_waitcnt lgkmcnt(0)
	v_mul_lo_u32 v6, s1, v5
	v_mul_lo_u32 v4, s0, v4
	v_mad_u64_u32 v[1:2], null, s0, v5, v[1:2]
	v_cmp_ge_u64_e64 s0, s[18:19], s[10:11]
	s_and_b32 vcc_lo, exec_lo, s0
	v_add3_u32 v2, v6, v2, v4
	s_cbranch_vccnz .LBB0_9
; %bb.7:                                ;   in Loop: Header=BB0_2 Depth=1
	v_mov_b32_e32 v5, v7
	v_mov_b32_e32 v6, v8
	s_branch .LBB0_2
.LBB0_8:
	v_mov_b32_e32 v8, v6
	v_mov_b32_e32 v7, v5
.LBB0_9:
	s_lshl_b64 s[0:1], s[10:11], 3
	v_mul_hi_u32 v3, 0x97b425f, v0
	s_add_u32 s0, s14, s0
	s_addc_u32 s1, s15, s1
                                        ; implicit-def: $vgpr10
	s_load_dwordx2 s[0:1], s[0:1], 0x0
	s_load_dwordx2 s[4:5], s[4:5], 0x20
	v_mul_u32_u24_e32 v3, 27, v3
	v_sub_nc_u32_e32 v6, v0, v3
	v_add_nc_u32_e32 v9, 27, v6
	s_waitcnt lgkmcnt(0)
	v_mul_lo_u32 v4, s0, v8
	v_mul_lo_u32 v5, s1, v7
	v_mad_u64_u32 v[1:2], null, s0, v7, v[1:2]
	v_cmp_gt_u64_e32 vcc_lo, s[4:5], v[7:8]
	v_cmp_le_u64_e64 s0, s[4:5], v[7:8]
	v_add_nc_u32_e32 v8, 54, v6
                                        ; implicit-def: $vgpr7
	v_add3_u32 v2, v5, v2, v4
                                        ; implicit-def: $vgpr4
	s_and_saveexec_b32 s1, s0
	s_xor_b32 s0, exec_lo, s1
; %bb.10:
	v_add_nc_u32_e32 v10, 27, v6
	v_add_nc_u32_e32 v4, 54, v6
	;; [unrolled: 1-line block ×3, first 2 shown]
; %bb.11:
	s_or_saveexec_b32 s1, s0
	v_lshlrev_b64 v[0:1], 2, v[1:2]
                                        ; implicit-def: $vgpr17
                                        ; implicit-def: $vgpr12
                                        ; implicit-def: $vgpr27
                                        ; implicit-def: $vgpr32
                                        ; implicit-def: $vgpr19
                                        ; implicit-def: $vgpr13
                                        ; implicit-def: $vgpr29
                                        ; implicit-def: $vgpr26
                                        ; implicit-def: $vgpr23
                                        ; implicit-def: $vgpr14
                                        ; implicit-def: $vgpr30
                                        ; implicit-def: $vgpr28
                                        ; implicit-def: $vgpr24
                                        ; implicit-def: $vgpr15
                                        ; implicit-def: $vgpr31
                                        ; implicit-def: $vgpr37
                                        ; implicit-def: $vgpr25
                                        ; implicit-def: $vgpr2
                                        ; implicit-def: $vgpr3
                                        ; implicit-def: $vgpr5
	s_xor_b32 exec_lo, exec_lo, s1
	s_cbranch_execz .LBB0_13
; %bb.12:
	v_mad_u64_u32 v[2:3], null, s2, v6, 0
	v_mad_u64_u32 v[4:5], null, s2, v9, 0
	v_add_nc_u32_e32 v7, 0x51, v6
	v_add_nc_u32_e32 v22, 0x6c, v6
	v_add_co_u32 v33, s0, s12, v0
	v_add_co_ci_u32_e64 v34, s0, s13, v1, s0
	v_mad_u64_u32 v[12:13], null, s3, v6, v[3:4]
	v_mov_b32_e32 v3, v5
	v_mad_u64_u32 v[13:14], null, s2, v8, 0
	v_mad_u64_u32 v[15:16], null, s2, v7, 0
	;; [unrolled: 1-line block ×3, first 2 shown]
	v_mov_b32_e32 v3, v12
	v_add_nc_u32_e32 v26, 0xa2, v6
	v_mov_b32_e32 v10, v14
	v_add_nc_u32_e32 v28, 0xbd, v6
	v_add_nc_u32_e32 v35, 0xf3, v6
	v_lshlrev_b64 v[2:3], 2, v[2:3]
	v_mov_b32_e32 v5, v17
	v_mad_u64_u32 v[17:18], null, s3, v8, v[10:11]
	v_mad_u64_u32 v[18:19], null, s2, v22, 0
	v_lshlrev_b64 v[4:5], 2, v[4:5]
	v_mov_b32_e32 v10, v16
	v_add_co_u32 v2, s0, v33, v2
	v_add_co_ci_u32_e64 v3, s0, v34, v3, s0
	v_mov_b32_e32 v14, v17
	v_mad_u64_u32 v[16:17], null, s3, v7, v[10:11]
	v_add_co_u32 v20, s0, v33, v4
	v_mov_b32_e32 v4, v19
	v_add_nc_u32_e32 v10, 0x87, v6
	v_add_co_ci_u32_e64 v21, s0, v34, v5, s0
	v_lshlrev_b64 v[12:13], 2, v[13:14]
	v_mad_u64_u32 v[4:5], null, s3, v22, v[4:5]
	v_mad_u64_u32 v[22:23], null, s2, v10, 0
	v_lshlrev_b64 v[14:15], 2, v[15:16]
	v_mad_u64_u32 v[16:17], null, s2, v26, 0
	v_mad_u64_u32 v[24:25], null, s2, v28, 0
	v_mov_b32_e32 v19, v4
	v_mov_b32_e32 v4, v23
	v_add_co_u32 v12, s0, v33, v12
	v_add_co_ci_u32_e64 v13, s0, v34, v13, s0
	v_mad_u64_u32 v[4:5], null, s3, v10, v[4:5]
	v_mov_b32_e32 v5, v17
	v_add_nc_u32_e32 v10, 0xd8, v6
	v_lshlrev_b64 v[17:18], 2, v[18:19]
	v_add_co_u32 v14, s0, v33, v14
	v_add_co_ci_u32_e64 v15, s0, v34, v15, s0
	v_mov_b32_e32 v23, v4
	v_mad_u64_u32 v[4:5], null, s3, v26, v[5:6]
	v_mov_b32_e32 v5, v25
	v_mad_u64_u32 v[26:27], null, s2, v10, 0
	v_add_co_u32 v31, s0, v33, v17
	v_mad_u64_u32 v[28:29], null, s3, v28, v[5:6]
	v_mad_u64_u32 v[29:30], null, s2, v35, 0
	v_mov_b32_e32 v5, v27
	v_mov_b32_e32 v17, v4
	v_add_co_ci_u32_e64 v32, s0, v34, v18, s0
	v_lshlrev_b64 v[18:19], 2, v[22:23]
	v_mad_u64_u32 v[4:5], null, s3, v10, v[5:6]
	v_mov_b32_e32 v5, v30
	v_mov_b32_e32 v25, v28
	v_lshlrev_b64 v[16:17], 2, v[16:17]
	v_add_co_u32 v18, s0, v33, v18
	v_mad_u64_u32 v[22:23], null, s3, v35, v[5:6]
	v_lshlrev_b64 v[23:24], 2, v[24:25]
	v_mov_b32_e32 v27, v4
	v_add_co_ci_u32_e64 v19, s0, v34, v19, s0
	v_add_co_u32 v16, s0, v33, v16
	v_mov_b32_e32 v30, v22
	v_add_co_ci_u32_e64 v17, s0, v34, v17, s0
	v_lshlrev_b64 v[4:5], 2, v[26:27]
	v_add_co_u32 v22, s0, v33, v23
	v_add_co_ci_u32_e64 v23, s0, v34, v24, s0
	v_lshlrev_b64 v[24:25], 2, v[29:30]
	v_add_co_u32 v29, s0, v33, v4
	v_add_co_ci_u32_e64 v30, s0, v34, v5, s0
	v_mov_b32_e32 v4, v8
	v_add_co_u32 v24, s0, v33, v24
	v_add_co_ci_u32_e64 v25, s0, v34, v25, s0
	s_clause 0x9
	global_load_dword v5, v[2:3], off
	global_load_dword v2, v[20:21], off
	;; [unrolled: 1-line block ×10, first 2 shown]
	v_mov_b32_e32 v10, v9
	s_waitcnt vmcnt(9)
	v_lshrrev_b32_e32 v3, 16, v5
	s_waitcnt vmcnt(8)
	v_lshrrev_b32_e32 v25, 16, v2
	;; [unrolled: 2-line block ×10, first 2 shown]
.LBB0_13:
	s_or_b32 exec_lo, exec_lo, s1
	v_add_f16_e32 v16, v26, v28
	v_add_f16_e32 v18, v37, v5
	v_sub_f16_e32 v20, v31, v27
	v_add_f16_e32 v34, v32, v37
	v_and_b32_e32 v11, 3, v11
	v_fma_f16 v16, -0.5, v16, v5
	v_add_f16_e32 v18, v28, v18
	v_sub_f16_e32 v21, v30, v29
	v_sub_f16_e32 v22, v37, v28
	;; [unrolled: 1-line block ×3, first 2 shown]
	v_fmamk_f16 v35, v20, 0xbb9c, v16
	v_add_f16_e32 v18, v26, v18
	v_fmac_f16_e32 v16, 0x3b9c, v20
	v_fmac_f16_e32 v5, -0.5, v34
	v_add_f16_e32 v36, v13, v14
	v_add_f16_e32 v22, v33, v22
	v_fmac_f16_e32 v35, 0xb8b4, v21
	v_mul_u32_u24_e32 v38, 0x10e, v11
	v_add_f16_e32 v11, v32, v18
	v_fmac_f16_e32 v16, 0x38b4, v21
	v_fmamk_f16 v18, v21, 0x3b9c, v5
	v_sub_f16_e32 v33, v28, v37
	v_sub_f16_e32 v34, v26, v32
	v_fmac_f16_e32 v5, 0xbb9c, v21
	v_add_f16_e32 v21, v15, v2
	v_fma_f16 v41, -0.5, v36, v2
	v_fmac_f16_e32 v18, 0xb8b4, v20
	v_add_f16_e32 v33, v34, v33
	v_sub_f16_e32 v36, v15, v14
	v_sub_f16_e32 v39, v12, v13
	v_fmac_f16_e32 v5, 0x38b4, v20
	v_add_f16_e32 v20, v14, v21
	v_add_f16_e32 v21, v12, v15
	v_fmac_f16_e32 v35, 0x34f2, v22
	v_fmac_f16_e32 v16, 0x34f2, v22
	v_sub_f16_e32 v22, v24, v17
	v_add_f16_e32 v36, v39, v36
	v_fmac_f16_e32 v18, 0x34f2, v33
	v_fmac_f16_e32 v5, 0x34f2, v33
	v_fmac_f16_e32 v2, -0.5, v21
	v_add_f16_e32 v21, v19, v23
	v_sub_f16_e32 v33, v14, v15
	v_sub_f16_e32 v39, v13, v12
	v_fmamk_f16 v42, v22, 0xbb9c, v41
	v_sub_f16_e32 v34, v23, v19
	v_fmac_f16_e32 v41, 0x3b9c, v22
	v_fma_f16 v43, -0.5, v21, v25
	v_add_f16_e32 v21, v39, v33
	v_add_f16_e32 v33, v17, v24
	v_fmac_f16_e32 v42, 0xb8b4, v34
	v_add_f16_e32 v20, v13, v20
	v_sub_f16_e32 v15, v15, v12
	v_fmac_f16_e32 v41, 0x38b4, v34
	v_sub_f16_e32 v13, v14, v13
	v_fma_f16 v47, -0.5, v33, v25
	v_fmac_f16_e32 v42, 0x34f2, v36
	v_fmamk_f16 v44, v34, 0x3b9c, v2
	v_fmamk_f16 v45, v15, 0x3b9c, v43
	v_fmac_f16_e32 v41, 0x34f2, v36
	v_fmac_f16_e32 v2, 0xbb9c, v34
	v_sub_f16_e32 v14, v24, v23
	v_sub_f16_e32 v33, v17, v19
	v_fmamk_f16 v46, v13, 0xbb9c, v47
	v_sub_f16_e32 v34, v23, v24
	v_sub_f16_e32 v36, v19, v17
	v_fmac_f16_e32 v47, 0x3b9c, v13
	v_fmac_f16_e32 v43, 0xbb9c, v15
	;; [unrolled: 1-line block ×3, first 2 shown]
	v_add_f16_e32 v14, v33, v14
	v_fmac_f16_e32 v46, 0x38b4, v15
	v_add_f16_e32 v33, v36, v34
	v_fmac_f16_e32 v47, 0xb8b4, v15
	v_fmac_f16_e32 v43, 0xb8b4, v13
	;; [unrolled: 1-line block ×10, first 2 shown]
	v_mul_f16_e32 v13, 0xb8b4, v45
	v_mul_f16_e32 v14, 0xbb9c, v46
	;; [unrolled: 1-line block ×4, first 2 shown]
	v_add_f16_e32 v12, v12, v20
	v_fmac_f16_e32 v13, 0x3a79, v42
	v_fmac_f16_e32 v14, 0x34f2, v44
	v_fmamk_f16 v15, v2, 0xb4f2, v15
	v_fmamk_f16 v20, v41, 0xba79, v21
	v_add_f16_e32 v21, v12, v11
	v_add_f16_e32 v22, v35, v13
	;; [unrolled: 1-line block ×4, first 2 shown]
	v_sub_f16_e32 v11, v11, v12
	v_mul_u32_u24_e32 v12, 10, v6
	v_lshl_add_u32 v39, v38, 1, 0
	v_add_f16_e32 v36, v16, v20
	v_sub_f16_e32 v13, v35, v13
	v_sub_f16_e32 v14, v18, v14
	;; [unrolled: 1-line block ×4, first 2 shown]
	v_lshl_add_u32 v48, v12, 1, v39
	v_pack_b32_f16 v12, v33, v34
	v_pack_b32_f16 v15, v21, v22
	;; [unrolled: 1-line block ×5, first 2 shown]
	ds_write2_b32 v48, v15, v12 offset1:1
	ds_write2_b32 v48, v11, v13 offset0:2 offset1:3
	ds_write_b32 v48, v5 offset:16
	v_lshl_add_u32 v12, v6, 1, v39
	v_mad_i32_i24 v5, 0xffffffee, v6, v48
	v_lshl_add_u32 v16, v4, 1, v39
	s_waitcnt lgkmcnt(0)
	s_barrier
	buffer_gl0_inv
	v_lshl_add_u32 v13, v10, 1, v39
	ds_read_u16 v21, v12
	ds_read_u16 v35, v5 offset:180
	ds_read_u16 v34, v5 offset:234
	;; [unrolled: 1-line block ×3, first 2 shown]
	ds_read_u16 v20, v16
	ds_read_u16 v22, v13
	ds_read_u16 v33, v5 offset:468
	ds_read_u16 v40, v5 offset:360
	;; [unrolled: 1-line block ×3, first 2 shown]
	v_cmp_gt_u32_e64 s0, 9, v6
	v_lshlrev_b32_e32 v14, 1, v7
	v_lshlrev_b32_e32 v15, 1, v38
                                        ; implicit-def: $vgpr38
                                        ; implicit-def: $vgpr39
	s_and_saveexec_b32 s1, s0
	s_cbranch_execz .LBB0_15
; %bb.14:
	v_add3_u32 v18, 0, v14, v15
	ds_read_u16 v39, v5 offset:342
	ds_read_u16 v18, v18
	ds_read_u16 v38, v5 offset:522
.LBB0_15:
	s_or_b32 exec_lo, exec_lo, s1
	v_add_f16_e32 v49, v31, v3
	v_add_f16_e32 v50, v29, v30
	;; [unrolled: 1-line block ×3, first 2 shown]
	v_sub_f16_e32 v26, v28, v26
	v_sub_f16_e32 v32, v37, v32
	v_add_f16_e32 v49, v30, v49
	v_fma_f16 v50, -0.5, v50, v3
	v_fmac_f16_e32 v3, -0.5, v51
	v_sub_f16_e32 v37, v31, v30
	v_sub_f16_e32 v52, v27, v29
	v_add_f16_e32 v28, v29, v49
	v_sub_f16_e32 v30, v30, v31
	v_fmamk_f16 v51, v26, 0xbb9c, v3
	v_fmac_f16_e32 v3, 0x3b9c, v26
	v_add_f16_e32 v24, v24, v25
	v_add_f16_e32 v28, v27, v28
	v_sub_f16_e32 v27, v29, v27
	v_fmamk_f16 v49, v32, 0x3b9c, v50
	v_fmac_f16_e32 v51, 0x38b4, v32
	v_fmac_f16_e32 v3, 0xb8b4, v32
	v_add_f16_e32 v23, v23, v24
	v_add_f16_e32 v25, v27, v30
	v_fmac_f16_e32 v50, 0xbb9c, v32
	v_add_f16_e32 v37, v52, v37
	v_fmac_f16_e32 v49, 0x38b4, v26
	;; [unrolled: 2-line block ×3, first 2 shown]
	v_fmac_f16_e32 v3, 0x34f2, v25
	v_mul_f16_e32 v23, 0x38b4, v42
	v_mul_f16_e32 v24, 0x3b9c, v44
	;; [unrolled: 1-line block ×3, first 2 shown]
	v_fmac_f16_e32 v50, 0xb8b4, v26
	v_mul_f16_e32 v26, 0x3a79, v43
	v_fmac_f16_e32 v49, 0x34f2, v37
	v_add_f16_e32 v17, v17, v19
	v_fmac_f16_e32 v23, 0x3a79, v45
	v_fmac_f16_e32 v24, 0x34f2, v46
	v_fma_f16 v2, v2, 0x3b9c, -v25
	v_fmac_f16_e32 v50, 0x34f2, v37
	v_fma_f16 v19, v41, 0x38b4, -v26
	v_add_f16_e32 v25, v17, v28
	v_add_f16_e32 v26, v49, v23
	;; [unrolled: 1-line block ×5, first 2 shown]
	v_sub_f16_e32 v17, v28, v17
	v_sub_f16_e32 v23, v49, v23
	;; [unrolled: 1-line block ×5, first 2 shown]
	v_pack_b32_f16 v3, v27, v29
	v_pack_b32_f16 v25, v25, v26
	;; [unrolled: 1-line block ×5, first 2 shown]
	s_waitcnt lgkmcnt(0)
	s_barrier
	buffer_gl0_inv
	ds_write2_b32 v48, v25, v3 offset1:1
	ds_write2_b32 v48, v17, v23 offset0:2 offset1:3
	ds_write_b32 v48, v2 offset:16
	s_waitcnt lgkmcnt(0)
	s_barrier
	buffer_gl0_inv
	ds_read_u16 v23, v12
	ds_read_u16 v28, v5 offset:180
	ds_read_u16 v17, v5 offset:234
	;; [unrolled: 1-line block ×3, first 2 shown]
	ds_read_u16 v24, v16
	ds_read_u16 v25, v13
	ds_read_u16 v27, v5 offset:468
	ds_read_u16 v37, v5 offset:360
	;; [unrolled: 1-line block ×3, first 2 shown]
                                        ; implicit-def: $vgpr30
                                        ; implicit-def: $vgpr32
	s_and_saveexec_b32 s1, s0
	s_cbranch_execz .LBB0_17
; %bb.16:
	v_add3_u32 v2, 0, v14, v15
	ds_read_u16 v32, v5 offset:342
	ds_read_u16 v19, v2
	ds_read_u16 v30, v5 offset:522
.LBB0_17:
	s_or_b32 exec_lo, exec_lo, s1
	v_and_b32_e32 v2, 0xff, v6
	v_and_b32_e32 v31, 0xff, v10
	;; [unrolled: 1-line block ×3, first 2 shown]
	v_mov_b32_e32 v44, 3
	v_mov_b32_e32 v54, 1
	v_mul_lo_u16 v2, 0xcd, v2
	v_mul_lo_u16 v31, 0xcd, v31
	;; [unrolled: 1-line block ×3, first 2 shown]
	v_lshrrev_b16 v41, 11, v2
	v_and_b32_e32 v2, 0xff, v7
	v_lshrrev_b16 v43, 11, v31
	v_lshrrev_b16 v42, 11, v42
	v_mul_lo_u16 v31, v41, 10
	v_mul_lo_u16 v45, 0xcd, v2
	;; [unrolled: 1-line block ×3, first 2 shown]
	v_and_b32_e32 v41, 0xffff, v41
	v_and_b32_e32 v43, 0xffff, v43
	v_sub_nc_u16 v47, v6, v31
	v_lshrrev_b16 v31, 11, v45
	v_mul_lo_u16 v45, v42, 10
	v_sub_nc_u16 v46, v10, v46
	v_and_b32_e32 v42, 0xffff, v42
	v_lshlrev_b32_sdwa v48, v44, v47 dst_sel:DWORD dst_unused:UNUSED_PAD src0_sel:DWORD src1_sel:BYTE_0
	v_mul_lo_u16 v31, v31, 10
	v_sub_nc_u16 v45, v4, v45
	v_lshlrev_b32_sdwa v49, v44, v46 dst_sel:DWORD dst_unused:UNUSED_PAD src0_sel:DWORD src1_sel:BYTE_0
	v_mad_u32_u24 v41, v41, 60, 0
	global_load_dwordx2 v[55:56], v48, s[8:9]
	v_sub_nc_u16 v31, v7, v31
	v_lshlrev_b32_sdwa v46, v54, v46 dst_sel:DWORD dst_unused:UNUSED_PAD src0_sel:DWORD src1_sel:BYTE_0
	global_load_dwordx2 v[57:58], v49, s[8:9]
	v_lshlrev_b32_sdwa v48, v44, v45 dst_sel:DWORD dst_unused:UNUSED_PAD src0_sel:DWORD src1_sel:BYTE_0
	v_lshlrev_b32_sdwa v45, v54, v45 dst_sel:DWORD dst_unused:UNUSED_PAD src0_sel:DWORD src1_sel:BYTE_0
	;; [unrolled: 1-line block ×3, first 2 shown]
	s_clause 0x1
	global_load_dwordx2 v[59:60], v48, s[8:9]
	global_load_dwordx2 v[61:62], v44, s[8:9]
	v_mad_u32_u24 v48, v42, 60, 0
	v_lshlrev_b32_sdwa v42, v54, v47 dst_sel:DWORD dst_unused:UNUSED_PAD src0_sel:DWORD src1_sel:BYTE_0
	v_mad_u32_u24 v44, v43, 60, 0
	s_waitcnt vmcnt(0) lgkmcnt(0)
	s_barrier
	buffer_gl0_inv
	v_add3_u32 v43, v41, v42, v15
	v_add3_u32 v41, v48, v45, v15
	;; [unrolled: 1-line block ×3, first 2 shown]
	v_mul_f16_sdwa v50, v28, v55 dst_sel:DWORD dst_unused:UNUSED_PAD src0_sel:DWORD src1_sel:WORD_1
	v_mul_f16_sdwa v51, v37, v56 dst_sel:DWORD dst_unused:UNUSED_PAD src0_sel:DWORD src1_sel:WORD_1
	;; [unrolled: 1-line block ×7, first 2 shown]
	v_fmac_f16_e32 v50, v35, v55
	v_fmac_f16_e32 v51, v40, v56
	v_mul_f16_sdwa v44, v29, v59 dst_sel:DWORD dst_unused:UNUSED_PAD src0_sel:DWORD src1_sel:WORD_1
	v_mul_f16_sdwa v45, v32, v61 dst_sel:DWORD dst_unused:UNUSED_PAD src0_sel:DWORD src1_sel:WORD_1
	;; [unrolled: 1-line block ×6, first 2 shown]
	v_fmac_f16_e32 v45, v39, v61
	v_fmac_f16_e32 v47, v38, v62
	v_mul_f16_sdwa v64, v34, v57 dst_sel:DWORD dst_unused:UNUSED_PAD src0_sel:DWORD src1_sel:WORD_1
	v_mul_f16_sdwa v66, v36, v59 dst_sel:DWORD dst_unused:UNUSED_PAD src0_sel:DWORD src1_sel:WORD_1
	v_fmac_f16_e32 v48, v34, v57
	v_fmac_f16_e32 v49, v11, v58
	v_mul_f16_sdwa v67, v33, v60 dst_sel:DWORD dst_unused:UNUSED_PAD src0_sel:DWORD src1_sel:WORD_1
	v_fma_f16 v53, v28, v55, -v52
	v_fmac_f16_e32 v44, v36, v59
	v_fmac_f16_e32 v46, v33, v60
	v_fma_f16 v33, v32, v61, -v68
	v_fma_f16 v32, v30, v62, -v69
	v_add_f16_e32 v55, v45, v47
	v_fma_f16 v37, v37, v56, -v63
	v_fma_f16 v40, v26, v58, -v65
	v_add_f16_e32 v26, v50, v51
	;; [unrolled: 3-line block ×3, first 2 shown]
	v_fma_f16 v17, v27, v60, -v67
	v_add_f16_e32 v11, v21, v50
	v_add_f16_e32 v35, v44, v46
	;; [unrolled: 1-line block ×3, first 2 shown]
	v_sub_f16_e32 v56, v33, v32
	v_fmac_f16_e32 v18, -0.5, v55
	v_sub_f16_e32 v27, v53, v37
	v_add_f16_e32 v34, v20, v44
	v_fmac_f16_e32 v21, -0.5, v26
	v_add_f16_e32 v28, v22, v48
	v_sub_f16_e32 v30, v52, v40
	v_fmac_f16_e32 v22, -0.5, v29
	v_sub_f16_e32 v38, v36, v17
	v_add_f16_e32 v57, v11, v51
	v_fmac_f16_e32 v20, -0.5, v35
	v_add_f16_e32 v11, v39, v47
	v_fmamk_f16 v26, v56, 0xbaee, v18
	v_fmac_f16_e32 v18, 0x3aee, v56
	v_add_f16_e32 v29, v34, v46
	v_fmamk_f16 v34, v27, 0xbaee, v21
	v_fmac_f16_e32 v21, 0x3aee, v27
	;; [unrolled: 3-line block ×3, first 2 shown]
	v_fmamk_f16 v30, v38, 0xbaee, v20
	v_fmac_f16_e32 v20, 0x3aee, v38
	ds_write_b16 v43, v57
	ds_write_b16 v43, v34 offset:20
	ds_write_b16 v43, v21 offset:40
	ds_write_b16 v42, v28
	ds_write_b16 v42, v27 offset:20
	ds_write_b16 v42, v22 offset:40
	ds_write_b16 v41, v29
	ds_write_b16 v41, v30 offset:20
	ds_write_b16 v41, v20 offset:40
	s_and_saveexec_b32 s1, s0
	s_cbranch_execz .LBB0_19
; %bb.18:
	v_lshlrev_b32_sdwa v20, v54, v31 dst_sel:DWORD dst_unused:UNUSED_PAD src0_sel:DWORD src1_sel:BYTE_0
	v_add3_u32 v20, 0, v20, v15
	ds_write_b16 v20, v11 offset:480
	ds_write_b16 v20, v26 offset:500
	;; [unrolled: 1-line block ×3, first 2 shown]
.LBB0_19:
	s_or_b32 exec_lo, exec_lo, s1
	s_waitcnt lgkmcnt(0)
	s_barrier
	buffer_gl0_inv
	ds_read_u16 v22, v12
	ds_read_u16 v34, v5 offset:180
	ds_read_u16 v27, v5 offset:234
	;; [unrolled: 1-line block ×3, first 2 shown]
	ds_read_u16 v20, v16
	ds_read_u16 v21, v13
	ds_read_u16 v29, v5 offset:468
	ds_read_u16 v35, v5 offset:360
	;; [unrolled: 1-line block ×3, first 2 shown]
	s_and_saveexec_b32 s1, s0
	s_cbranch_execz .LBB0_21
; %bb.20:
	v_add3_u32 v11, 0, v14, v15
	ds_read_u16 v26, v5 offset:342
	ds_read_u16 v11, v11
	ds_read_u16 v18, v5 offset:522
.LBB0_21:
	s_or_b32 exec_lo, exec_lo, s1
	v_add_f16_e32 v38, v53, v37
	v_sub_f16_e32 v50, v50, v51
	v_add_f16_e32 v51, v52, v40
	v_add_f16_e32 v39, v23, v53
	v_sub_f16_e32 v48, v48, v49
	v_fmac_f16_e32 v23, -0.5, v38
	v_add_f16_e32 v38, v25, v52
	v_fmac_f16_e32 v25, -0.5, v51
	v_add_f16_e32 v39, v39, v37
	v_add_f16_e32 v37, v36, v17
	;; [unrolled: 1-line block ×4, first 2 shown]
	v_fmamk_f16 v40, v48, 0x3aee, v25
	v_fmac_f16_e32 v25, 0xbaee, v48
	v_add_f16_e32 v48, v33, v32
	v_fmac_f16_e32 v24, -0.5, v37
	v_sub_f16_e32 v37, v44, v46
	v_add_f16_e32 v33, v19, v33
	v_sub_f16_e32 v44, v45, v47
	v_fmac_f16_e32 v19, -0.5, v48
	v_add_f16_e32 v36, v36, v17
	v_fmamk_f16 v45, v37, 0x3aee, v24
	v_fmac_f16_e32 v24, 0xbaee, v37
	v_add_f16_e32 v17, v33, v32
	v_fmamk_f16 v37, v44, 0x3aee, v19
	v_fmac_f16_e32 v19, 0xbaee, v44
	v_fmamk_f16 v49, v50, 0x3aee, v23
	v_fmac_f16_e32 v23, 0xbaee, v50
	s_waitcnt lgkmcnt(0)
	s_barrier
	buffer_gl0_inv
	ds_write_b16 v43, v39
	ds_write_b16 v43, v49 offset:20
	ds_write_b16 v43, v23 offset:40
	ds_write_b16 v42, v38
	ds_write_b16 v42, v40 offset:20
	ds_write_b16 v42, v25 offset:40
	;; [unrolled: 3-line block ×3, first 2 shown]
	s_and_saveexec_b32 s1, s0
	s_cbranch_execz .LBB0_23
; %bb.22:
	v_mov_b32_e32 v23, 1
	v_lshlrev_b32_sdwa v23, v23, v31 dst_sel:DWORD dst_unused:UNUSED_PAD src0_sel:DWORD src1_sel:BYTE_0
	v_add3_u32 v23, 0, v23, v15
	ds_write_b16 v23, v17 offset:480
	ds_write_b16 v23, v37 offset:500
	;; [unrolled: 1-line block ×3, first 2 shown]
.LBB0_23:
	s_or_b32 exec_lo, exec_lo, s1
	s_waitcnt lgkmcnt(0)
	s_barrier
	buffer_gl0_inv
	ds_read_u16 v31, v12
	ds_read_u16 v39, v5 offset:180
	ds_read_u16 v23, v5 offset:234
	;; [unrolled: 1-line block ×3, first 2 shown]
	ds_read_u16 v32, v16
	ds_read_u16 v33, v13
	ds_read_u16 v25, v5 offset:468
	ds_read_u16 v42, v5 offset:360
	;; [unrolled: 1-line block ×3, first 2 shown]
	s_and_saveexec_b32 s1, s0
	s_cbranch_execz .LBB0_25
; %bb.24:
	v_add3_u32 v17, 0, v14, v15
	ds_read_u16 v37, v5 offset:342
	ds_read_u16 v17, v17
	ds_read_u16 v19, v5 offset:522
.LBB0_25:
	s_or_b32 exec_lo, exec_lo, s1
	v_add_nc_u32_e32 v36, -3, v6
	v_cmp_gt_u32_e64 s1, 3, v6
	v_lshlrev_b32_e32 v40, 1, v6
	v_mov_b32_e32 v41, 0
	v_mul_lo_u16 v3, 0x89, v3
	v_mul_lo_u16 v45, 0x89, v2
	v_cndmask_b32_e64 v36, v36, v10, s1
	v_mov_b32_e32 v49, 3
	v_lshlrev_b64 v[43:44], 2, v[40:41]
	v_lshrrev_b16 v47, 12, v3
	v_lshrrev_b16 v48, 12, v45
	v_lshlrev_b32_e32 v40, 1, v36
	v_mov_b32_e32 v53, 1
	v_add_co_u32 v2, s1, s8, v43
	v_mul_lo_u16 v36, v47, 30
	v_add_co_ci_u32_e64 v3, s1, s9, v44, s1
	v_lshlrev_b64 v[43:44], 2, v[40:41]
	v_sub_nc_u16 v41, v4, v36
	v_mul_lo_u16 v36, v48, 30
	global_load_dwordx2 v[45:46], v[2:3], off offset:80
	v_add_co_u32 v43, s1, s8, v43
	v_add_co_ci_u32_e64 v44, s1, s9, v44, s1
	v_sub_nc_u16 v36, v7, v36
	v_lshlrev_b32_sdwa v48, v49, v41 dst_sel:DWORD dst_unused:UNUSED_PAD src0_sel:DWORD src1_sel:BYTE_0
	v_cmp_lt_u32_e64 s1, 2, v6
	global_load_dwordx2 v[54:55], v[43:44], off offset:80
	v_and_b32_e32 v44, 0xffff, v47
	v_lshlrev_b32_sdwa v43, v49, v36 dst_sel:DWORD dst_unused:UNUSED_PAD src0_sel:DWORD src1_sel:BYTE_0
	s_clause 0x1
	global_load_dwordx2 v[56:57], v48, s[8:9] offset:80
	global_load_dwordx2 v[58:59], v43, s[8:9] offset:80
	v_cndmask_b32_e64 v43, 0, 0xb4, s1
	v_mad_u32_u24 v44, 0xb4, v44, 0
	v_lshlrev_b32_sdwa v47, v53, v41 dst_sel:DWORD dst_unused:UNUSED_PAD src0_sel:DWORD src1_sel:BYTE_0
	s_waitcnt vmcnt(0) lgkmcnt(0)
	s_barrier
	v_add_nc_u32_e32 v43, 0, v43
	buffer_gl0_inv
	v_add3_u32 v41, v43, v40, v15
	v_add3_u32 v40, v44, v47, v15
	v_mul_f16_sdwa v47, v39, v45 dst_sel:DWORD dst_unused:UNUSED_PAD src0_sel:DWORD src1_sel:WORD_1
	v_mul_f16_sdwa v49, v42, v46 dst_sel:DWORD dst_unused:UNUSED_PAD src0_sel:DWORD src1_sel:WORD_1
	v_mul_f16_sdwa v44, v35, v46 dst_sel:DWORD dst_unused:UNUSED_PAD src0_sel:DWORD src1_sel:WORD_1
	v_mul_f16_sdwa v43, v34, v45 dst_sel:DWORD dst_unused:UNUSED_PAD src0_sel:DWORD src1_sel:WORD_1
	v_fmac_f16_e32 v47, v34, v45
	v_fmac_f16_e32 v49, v35, v46
	v_fma_f16 v44, v42, v46, -v44
	v_fma_f16 v50, v39, v45, -v43
	v_mul_f16_sdwa v46, v23, v54 dst_sel:DWORD dst_unused:UNUSED_PAD src0_sel:DWORD src1_sel:WORD_1
	v_mul_f16_sdwa v48, v24, v55 dst_sel:DWORD dst_unused:UNUSED_PAD src0_sel:DWORD src1_sel:WORD_1
	;; [unrolled: 1-line block ×3, first 2 shown]
	v_add_f16_e32 v65, v47, v49
	v_mul_f16_sdwa v43, v27, v54 dst_sel:DWORD dst_unused:UNUSED_PAD src0_sel:DWORD src1_sel:WORD_1
	v_mul_f16_sdwa v34, v38, v56 dst_sel:DWORD dst_unused:UNUSED_PAD src0_sel:DWORD src1_sel:WORD_1
	;; [unrolled: 1-line block ×7, first 2 shown]
	v_fmac_f16_e32 v35, v26, v58
	v_fmac_f16_e32 v42, v18, v59
	;; [unrolled: 1-line block ×4, first 2 shown]
	v_mul_f16_sdwa v60, v30, v56 dst_sel:DWORD dst_unused:UNUSED_PAD src0_sel:DWORD src1_sel:WORD_1
	v_mul_f16_sdwa v61, v29, v57 dst_sel:DWORD dst_unused:UNUSED_PAD src0_sel:DWORD src1_sel:WORD_1
	v_fmac_f16_e32 v34, v30, v56
	v_fmac_f16_e32 v39, v29, v57
	v_add_f16_e32 v64, v22, v47
	v_sub_f16_e32 v66, v50, v44
	v_fma_f16 v51, v24, v55, -v45
	v_fmac_f16_e32 v22, -0.5, v65
	v_fma_f16 v45, v37, v58, -v62
	v_fma_f16 v37, v19, v59, -v63
	v_add_f16_e32 v30, v35, v42
	v_fma_f16 v52, v23, v54, -v43
	v_add_f16_e32 v24, v46, v48
	v_fma_f16 v43, v38, v56, -v60
	v_fma_f16 v38, v25, v57, -v61
	v_add_f16_e32 v27, v34, v39
	v_add_f16_e32 v18, v64, v49
	v_fmamk_f16 v19, v66, 0xbaee, v22
	v_add_f16_e32 v23, v21, v46
	v_add_f16_e32 v29, v11, v35
	v_sub_f16_e32 v54, v45, v37
	v_fmac_f16_e32 v11, -0.5, v30
	v_fmac_f16_e32 v22, 0x3aee, v66
	v_sub_f16_e32 v25, v52, v51
	v_fmac_f16_e32 v21, -0.5, v24
	v_add_f16_e32 v26, v20, v34
	v_sub_f16_e32 v28, v43, v38
	v_fmac_f16_e32 v20, -0.5, v27
	ds_write_b16 v5, v18
	v_add_f16_e32 v23, v23, v48
	v_add_f16_e32 v18, v29, v42
	ds_write_b16 v5, v19 offset:60
	ds_write_b16 v5, v22 offset:120
	v_fmamk_f16 v19, v54, 0xbaee, v11
	v_fmac_f16_e32 v11, 0x3aee, v54
	v_fmamk_f16 v22, v25, 0xbaee, v21
	v_fmac_f16_e32 v21, 0x3aee, v25
	v_add_f16_e32 v24, v26, v39
	v_fmamk_f16 v25, v28, 0xbaee, v20
	v_fmac_f16_e32 v20, 0x3aee, v28
	ds_write_b16 v41, v23
	ds_write_b16 v41, v22 offset:60
	ds_write_b16 v41, v21 offset:120
	ds_write_b16 v40, v24
	ds_write_b16 v40, v25 offset:60
	ds_write_b16 v40, v20 offset:120
	s_and_saveexec_b32 s1, s0
	s_cbranch_execz .LBB0_27
; %bb.26:
	v_lshlrev_b32_sdwa v20, v53, v36 dst_sel:DWORD dst_unused:UNUSED_PAD src0_sel:DWORD src1_sel:BYTE_0
	v_add3_u32 v20, 0, v20, v15
	ds_write_b16 v20, v18 offset:360
	ds_write_b16 v20, v19 offset:420
	;; [unrolled: 1-line block ×3, first 2 shown]
.LBB0_27:
	s_or_b32 exec_lo, exec_lo, s1
	s_waitcnt lgkmcnt(0)
	s_barrier
	buffer_gl0_inv
	ds_read_u16 v22, v12
	ds_read_u16 v24, v5 offset:180
	ds_read_u16 v26, v5 offset:234
	;; [unrolled: 1-line block ×3, first 2 shown]
	ds_read_u16 v25, v16
	ds_read_u16 v23, v13
	ds_read_u16 v29, v5 offset:468
	ds_read_u16 v28, v5 offset:360
	ds_read_u16 v30, v5 offset:288
	s_and_saveexec_b32 s1, s0
	s_cbranch_execz .LBB0_29
; %bb.28:
	v_add3_u32 v11, 0, v14, v15
	ds_read_u16 v19, v5 offset:342
	ds_read_u16 v18, v11
	ds_read_u16 v11, v5 offset:522
.LBB0_29:
	s_or_b32 exec_lo, exec_lo, s1
	v_add_f16_e32 v20, v50, v44
	v_add_f16_e32 v21, v31, v50
	v_sub_f16_e32 v47, v47, v49
	v_sub_f16_e32 v46, v46, v48
	v_add_f16_e32 v49, v52, v51
	v_fmac_f16_e32 v31, -0.5, v20
	v_add_f16_e32 v20, v33, v52
	v_add_f16_e32 v44, v21, v44
	;; [unrolled: 1-line block ×3, first 2 shown]
	v_sub_f16_e32 v35, v35, v42
	v_fmamk_f16 v48, v47, 0x3aee, v31
	v_fmac_f16_e32 v31, 0xbaee, v47
	v_add_f16_e32 v47, v20, v51
	v_add_f16_e32 v20, v43, v38
	;; [unrolled: 1-line block ×3, first 2 shown]
	v_fmac_f16_e32 v33, -0.5, v49
	s_waitcnt lgkmcnt(0)
	s_barrier
	v_fmac_f16_e32 v32, -0.5, v20
	v_sub_f16_e32 v20, v34, v39
	v_add_f16_e32 v34, v17, v45
	v_fmac_f16_e32 v17, -0.5, v21
	v_fmamk_f16 v49, v46, 0x3aee, v33
	v_fmac_f16_e32 v33, 0xbaee, v46
	v_fmamk_f16 v39, v20, 0x3aee, v32
	v_fmac_f16_e32 v32, 0xbaee, v20
	v_add_f16_e32 v20, v34, v37
	v_fmamk_f16 v21, v35, 0x3aee, v17
	v_fmac_f16_e32 v17, 0xbaee, v35
	v_add_f16_e32 v38, v43, v38
	buffer_gl0_inv
	ds_write_b16 v5, v44
	ds_write_b16 v5, v48 offset:60
	ds_write_b16 v5, v31 offset:120
	ds_write_b16 v41, v47
	ds_write_b16 v41, v49 offset:60
	ds_write_b16 v41, v33 offset:120
	;; [unrolled: 3-line block ×3, first 2 shown]
	s_and_saveexec_b32 s1, s0
	s_cbranch_execz .LBB0_31
; %bb.30:
	v_mov_b32_e32 v31, 1
	v_lshlrev_b32_sdwa v31, v31, v36 dst_sel:DWORD dst_unused:UNUSED_PAD src0_sel:DWORD src1_sel:BYTE_0
	v_add3_u32 v31, 0, v31, v15
	ds_write_b16 v31, v20 offset:360
	ds_write_b16 v31, v21 offset:420
	;; [unrolled: 1-line block ×3, first 2 shown]
.LBB0_31:
	s_or_b32 exec_lo, exec_lo, s1
	s_waitcnt lgkmcnt(0)
	s_barrier
	buffer_gl0_inv
	ds_read_u16 v12, v12
	ds_read_u16 v31, v5 offset:180
	ds_read_u16 v32, v5 offset:234
	;; [unrolled: 1-line block ×3, first 2 shown]
	ds_read_u16 v16, v16
	ds_read_u16 v13, v13
	ds_read_u16 v35, v5 offset:468
	ds_read_u16 v34, v5 offset:360
	ds_read_u16 v36, v5 offset:288
	s_and_saveexec_b32 s1, s0
	s_cbranch_execz .LBB0_33
; %bb.32:
	v_add3_u32 v14, 0, v14, v15
	ds_read_u16 v21, v5 offset:342
	ds_read_u16 v20, v14
	ds_read_u16 v17, v5 offset:522
.LBB0_33:
	s_or_b32 exec_lo, exec_lo, s1
	s_and_saveexec_b32 s1, vcc_lo
	s_cbranch_execz .LBB0_36
; %bb.34:
	v_lshlrev_b32_e32 v4, 1, v4
	v_mov_b32_e32 v5, 0
	v_mad_u64_u32 v[39:40], null, s2, v6, 0
	v_add_nc_u32_e32 v53, 0x5a, v6
	v_add_nc_u32_e32 v54, 0xb4, v6
	v_lshlrev_b64 v[14:15], 2, v[4:5]
	v_lshlrev_b32_e32 v4, 1, v10
	v_mad_u64_u32 v[41:42], null, s2, v9, 0
	v_add_nc_u32_e32 v55, 0x75, v6
	v_lshrrev_b32_e32 v10, 1, v8
	v_lshlrev_b64 v[37:38], 2, v[4:5]
	v_add_co_u32 v14, vcc_lo, s8, v14
	v_add_co_ci_u32_e32 v15, vcc_lo, s9, v15, vcc_lo
	v_mad_u64_u32 v[43:44], null, s2, v53, 0
	v_add_co_u32 v37, vcc_lo, s8, v37
	global_load_dwordx2 v[14:15], v[14:15], off offset:320
	v_add_co_ci_u32_e32 v38, vcc_lo, s9, v38, vcc_lo
	s_clause 0x1
	global_load_dwordx2 v[37:38], v[37:38], off offset:320
	global_load_dwordx2 v[2:3], v[2:3], off offset:320
	v_add_nc_u32_e32 v56, 0xcf, v6
	v_mad_u64_u32 v[45:46], null, s2, v54, 0
	v_mad_u64_u32 v[47:48], null, s2, v55, 0
	v_mul_hi_u32 v57, 0xb60b60b7, v10
	v_mov_b32_e32 v4, v40
	v_mov_b32_e32 v10, v42
	v_mad_u64_u32 v[49:50], null, s2, v56, 0
	v_mov_b32_e32 v40, v46
	v_mad_u64_u32 v[51:52], null, s3, v6, v[4:5]
	;; [unrolled: 2-line block ×3, first 2 shown]
	v_mov_b32_e32 v10, v48
	v_lshrrev_b32_e32 v44, 5, v57
	v_mad_u64_u32 v[52:53], null, s3, v53, v[4:5]
	v_mov_b32_e32 v42, v50
	v_mad_u64_u32 v[53:54], null, s3, v54, v[40:41]
	v_mad_u64_u32 v[54:55], null, s3, v55, v[10:11]
	v_mad_u32_u24 v10, 0xb4, v44, v8
	v_mad_u64_u32 v[55:56], null, s3, v56, v[42:43]
	v_mov_b32_e32 v42, v9
	v_mov_b32_e32 v40, v51
	v_mad_u64_u32 v[8:9], null, s2, v10, 0
	v_add_nc_u32_e32 v56, 0x5a, v10
	v_add_nc_u32_e32 v57, 0xb4, v10
	v_mov_b32_e32 v44, v52
	v_mov_b32_e32 v46, v53
	;; [unrolled: 1-line block ×3, first 2 shown]
	v_mad_u64_u32 v[51:52], null, s2, v56, 0
	v_mad_u64_u32 v[53:54], null, s2, v57, 0
	v_mov_b32_e32 v4, v9
	v_mov_b32_e32 v50, v55
	v_lshlrev_b64 v[39:40], 2, v[39:40]
	v_add_co_u32 v0, vcc_lo, s12, v0
	v_mad_u64_u32 v[9:10], null, s3, v10, v[4:5]
	v_mov_b32_e32 v4, v52
	v_mov_b32_e32 v10, v54
	v_add_co_ci_u32_e32 v1, vcc_lo, s13, v1, vcc_lo
	v_lshlrev_b64 v[41:42], 2, v[41:42]
	v_mad_u64_u32 v[54:55], null, s3, v56, v[4:5]
	v_mad_u64_u32 v[55:56], null, s3, v57, v[10:11]
	v_lshlrev_b64 v[43:44], 2, v[43:44]
	v_add_co_u32 v39, vcc_lo, v0, v39
	v_add_co_ci_u32_e32 v40, vcc_lo, v1, v40, vcc_lo
	v_mov_b32_e32 v52, v54
	v_mov_b32_e32 v54, v55
	v_lshlrev_b64 v[45:46], 2, v[45:46]
	v_add_co_u32 v41, vcc_lo, v0, v41
	v_add_co_ci_u32_e32 v42, vcc_lo, v1, v42, vcc_lo
	v_lshlrev_b64 v[47:48], 2, v[47:48]
	v_add_co_u32 v43, vcc_lo, v0, v43
	v_add_co_ci_u32_e32 v44, vcc_lo, v1, v44, vcc_lo
	;; [unrolled: 3-line block ×3, first 2 shown]
	v_add_co_u32 v47, vcc_lo, v0, v47
	v_lshlrev_b64 v[8:9], 2, v[8:9]
	v_add_co_ci_u32_e32 v48, vcc_lo, v1, v48, vcc_lo
	v_add_co_u32 v49, vcc_lo, v0, v49
	v_lshlrev_b64 v[51:52], 2, v[51:52]
	v_add_co_ci_u32_e32 v50, vcc_lo, v1, v50, vcc_lo
	v_lshlrev_b64 v[53:54], 2, v[53:54]
	v_add_co_u32 v8, vcc_lo, v0, v8
	v_add_co_ci_u32_e32 v9, vcc_lo, v1, v9, vcc_lo
	v_add_co_u32 v51, vcc_lo, v0, v51
	v_add_co_ci_u32_e32 v52, vcc_lo, v1, v52, vcc_lo
	;; [unrolled: 2-line block ×3, first 2 shown]
	s_waitcnt vmcnt(2)
	v_mul_f16_sdwa v4, v30, v14 dst_sel:DWORD dst_unused:UNUSED_PAD src0_sel:DWORD src1_sel:WORD_1
	v_mul_f16_sdwa v10, v29, v15 dst_sel:DWORD dst_unused:UNUSED_PAD src0_sel:DWORD src1_sel:WORD_1
	s_waitcnt lgkmcnt(0)
	v_mul_f16_sdwa v55, v36, v14 dst_sel:DWORD dst_unused:UNUSED_PAD src0_sel:DWORD src1_sel:WORD_1
	v_mul_f16_sdwa v56, v35, v15 dst_sel:DWORD dst_unused:UNUSED_PAD src0_sel:DWORD src1_sel:WORD_1
	v_fma_f16 v4, v36, v14, -v4
	v_fma_f16 v10, v35, v15, -v10
	v_fmac_f16_e32 v55, v30, v14
	v_fmac_f16_e32 v56, v29, v15
	s_waitcnt vmcnt(1)
	v_mul_f16_sdwa v14, v26, v37 dst_sel:DWORD dst_unused:UNUSED_PAD src0_sel:DWORD src1_sel:WORD_1
	v_mul_f16_sdwa v15, v27, v38 dst_sel:DWORD dst_unused:UNUSED_PAD src0_sel:DWORD src1_sel:WORD_1
	;; [unrolled: 1-line block ×4, first 2 shown]
	s_waitcnt vmcnt(0)
	v_mul_f16_sdwa v35, v24, v2 dst_sel:DWORD dst_unused:UNUSED_PAD src0_sel:DWORD src1_sel:WORD_1
	v_mul_f16_sdwa v36, v28, v3 dst_sel:DWORD dst_unused:UNUSED_PAD src0_sel:DWORD src1_sel:WORD_1
	;; [unrolled: 1-line block ×4, first 2 shown]
	v_add_f16_e32 v61, v16, v4
	v_add_f16_e32 v62, v55, v56
	v_fma_f16 v14, v32, v37, -v14
	v_fma_f16 v15, v33, v38, -v15
	v_fmac_f16_e32 v29, v26, v37
	v_fmac_f16_e32 v30, v27, v38
	v_fma_f16 v26, v31, v2, -v35
	v_fma_f16 v27, v34, v3, -v36
	v_fmac_f16_e32 v57, v24, v2
	v_fmac_f16_e32 v58, v28, v3
	v_add_f16_e32 v59, v4, v10
	v_sub_f16_e32 v60, v55, v56
	v_sub_f16_e32 v4, v4, v10
	v_add_f16_e32 v55, v25, v55
	v_add_f16_e32 v3, v61, v10
	v_fma_f16 v10, -0.5, v62, v25
	v_add_f16_e32 v24, v14, v15
	v_add_f16_e32 v28, v13, v14
	;; [unrolled: 1-line block ×5, first 2 shown]
	v_fma_f16 v2, -0.5, v59, v16
	v_add_f16_e32 v16, v55, v56
	v_sub_f16_e32 v25, v29, v30
	v_sub_f16_e32 v14, v14, v15
	;; [unrolled: 1-line block ×3, first 2 shown]
	v_add_f16_e32 v34, v12, v26
	v_sub_f16_e32 v26, v26, v27
	v_add_f16_e32 v36, v22, v57
	v_fmamk_f16 v38, v4, 0x3aee, v10
	v_fmac_f16_e32 v10, 0xbaee, v4
	v_fma_f16 v4, -0.5, v24, v13
	v_add_f16_e32 v13, v28, v15
	v_fma_f16 v15, -0.5, v31, v23
	v_fma_f16 v12, -0.5, v32, v12
	;; [unrolled: 1-line block ×3, first 2 shown]
	v_add_f16_e32 v29, v23, v29
	v_add_f16_e32 v24, v34, v27
	;; [unrolled: 1-line block ×3, first 2 shown]
	v_pack_b32_f16 v3, v16, v3
	v_fmamk_f16 v16, v25, 0xbaee, v4
	v_fmac_f16_e32 v4, 0x3aee, v25
	v_fmamk_f16 v25, v14, 0x3aee, v15
	v_fmac_f16_e32 v15, 0xbaee, v14
	;; [unrolled: 2-line block ×4, first 2 shown]
	v_add_f16_e32 v23, v29, v30
	v_fmamk_f16 v37, v60, 0xbaee, v2
	v_fmac_f16_e32 v2, 0x3aee, v60
	v_pack_b32_f16 v24, v27, v24
	v_pack_b32_f16 v12, v22, v12
	;; [unrolled: 1-line block ×8, first 2 shown]
	global_store_dword v[39:40], v24, off
	global_store_dword v[43:44], v12, off
	;; [unrolled: 1-line block ×9, first 2 shown]
	s_and_b32 exec_lo, exec_lo, s0
	s_cbranch_execz .LBB0_36
; %bb.35:
	v_add_nc_u32_e32 v2, -9, v6
	v_add_nc_u32_e32 v10, 0x51, v6
	v_add_nc_u32_e32 v14, 0xab, v6
	;; [unrolled: 1-line block ×3, first 2 shown]
	v_cndmask_b32_e64 v2, v2, v7, s0
	v_mad_u64_u32 v[6:7], null, s2, v14, 0
	v_mad_u64_u32 v[8:9], null, s2, v15, 0
	v_lshlrev_b32_e32 v4, 1, v2
	v_lshlrev_b64 v[2:3], 2, v[4:5]
	v_mad_u64_u32 v[4:5], null, s2, v10, 0
	v_add_co_u32 v2, vcc_lo, s8, v2
	v_add_co_ci_u32_e32 v3, vcc_lo, s9, v3, vcc_lo
	v_mad_u64_u32 v[12:13], null, s3, v10, v[5:6]
	v_mad_u64_u32 v[13:14], null, s3, v14, v[7:8]
	global_load_dwordx2 v[2:3], v[2:3], off offset:320
	v_mad_u64_u32 v[9:10], null, s3, v15, v[9:10]
	v_mov_b32_e32 v5, v12
	v_mov_b32_e32 v7, v13
	v_lshlrev_b64 v[4:5], 2, v[4:5]
	v_lshlrev_b64 v[8:9], 2, v[8:9]
	;; [unrolled: 1-line block ×3, first 2 shown]
	v_add_co_u32 v4, vcc_lo, v0, v4
	v_add_co_ci_u32_e32 v5, vcc_lo, v1, v5, vcc_lo
	s_waitcnt vmcnt(0)
	v_mul_f16_sdwa v10, v21, v2 dst_sel:DWORD dst_unused:UNUSED_PAD src0_sel:DWORD src1_sel:WORD_1
	v_mul_f16_sdwa v12, v19, v2 dst_sel:DWORD dst_unused:UNUSED_PAD src0_sel:DWORD src1_sel:WORD_1
	;; [unrolled: 1-line block ×4, first 2 shown]
	v_fmac_f16_e32 v10, v19, v2
	v_fma_f16 v12, v21, v2, -v12
	v_fmac_f16_e32 v13, v11, v3
	v_fma_f16 v11, v17, v3, -v14
	v_add_co_u32 v2, vcc_lo, v0, v6
	v_add_co_ci_u32_e32 v3, vcc_lo, v1, v7, vcc_lo
	v_add_f16_e32 v6, v10, v13
	v_add_f16_e32 v14, v12, v11
	;; [unrolled: 1-line block ×3, first 2 shown]
	v_sub_f16_e32 v15, v12, v11
	v_add_f16_e32 v12, v20, v12
	v_fmac_f16_e32 v18, -0.5, v6
	v_sub_f16_e32 v6, v10, v13
	v_fmac_f16_e32 v20, -0.5, v14
	v_add_f16_e32 v7, v7, v13
	v_add_f16_e32 v10, v12, v11
	v_fmamk_f16 v11, v15, 0xbaee, v18
	v_fmac_f16_e32 v18, 0x3aee, v15
	v_fmamk_f16 v12, v6, 0x3aee, v20
	v_fmac_f16_e32 v20, 0xbaee, v6
	v_add_co_u32 v0, vcc_lo, v0, v8
	v_pack_b32_f16 v6, v7, v10
	v_pack_b32_f16 v7, v11, v12
	v_add_co_ci_u32_e32 v1, vcc_lo, v1, v9, vcc_lo
	v_pack_b32_f16 v8, v18, v20
	global_store_dword v[4:5], v6, off
	global_store_dword v[2:3], v7, off
	global_store_dword v[0:1], v8, off
.LBB0_36:
	s_endpgm
	.section	.rodata,"a",@progbits
	.p2align	6, 0x0
	.amdhsa_kernel fft_rtc_back_len270_factors_10_3_3_3_wgs_108_tpt_27_halfLds_half_ip_CI_sbrr_dirReg
		.amdhsa_group_segment_fixed_size 0
		.amdhsa_private_segment_fixed_size 0
		.amdhsa_kernarg_size 88
		.amdhsa_user_sgpr_count 6
		.amdhsa_user_sgpr_private_segment_buffer 1
		.amdhsa_user_sgpr_dispatch_ptr 0
		.amdhsa_user_sgpr_queue_ptr 0
		.amdhsa_user_sgpr_kernarg_segment_ptr 1
		.amdhsa_user_sgpr_dispatch_id 0
		.amdhsa_user_sgpr_flat_scratch_init 0
		.amdhsa_user_sgpr_private_segment_size 0
		.amdhsa_wavefront_size32 1
		.amdhsa_uses_dynamic_stack 0
		.amdhsa_system_sgpr_private_segment_wavefront_offset 0
		.amdhsa_system_sgpr_workgroup_id_x 1
		.amdhsa_system_sgpr_workgroup_id_y 0
		.amdhsa_system_sgpr_workgroup_id_z 0
		.amdhsa_system_sgpr_workgroup_info 0
		.amdhsa_system_vgpr_workitem_id 0
		.amdhsa_next_free_vgpr 70
		.amdhsa_next_free_sgpr 23
		.amdhsa_reserve_vcc 1
		.amdhsa_reserve_flat_scratch 0
		.amdhsa_float_round_mode_32 0
		.amdhsa_float_round_mode_16_64 0
		.amdhsa_float_denorm_mode_32 3
		.amdhsa_float_denorm_mode_16_64 3
		.amdhsa_dx10_clamp 1
		.amdhsa_ieee_mode 1
		.amdhsa_fp16_overflow 0
		.amdhsa_workgroup_processor_mode 1
		.amdhsa_memory_ordered 1
		.amdhsa_forward_progress 0
		.amdhsa_shared_vgpr_count 0
		.amdhsa_exception_fp_ieee_invalid_op 0
		.amdhsa_exception_fp_denorm_src 0
		.amdhsa_exception_fp_ieee_div_zero 0
		.amdhsa_exception_fp_ieee_overflow 0
		.amdhsa_exception_fp_ieee_underflow 0
		.amdhsa_exception_fp_ieee_inexact 0
		.amdhsa_exception_int_div_zero 0
	.end_amdhsa_kernel
	.text
.Lfunc_end0:
	.size	fft_rtc_back_len270_factors_10_3_3_3_wgs_108_tpt_27_halfLds_half_ip_CI_sbrr_dirReg, .Lfunc_end0-fft_rtc_back_len270_factors_10_3_3_3_wgs_108_tpt_27_halfLds_half_ip_CI_sbrr_dirReg
                                        ; -- End function
	.section	.AMDGPU.csdata,"",@progbits
; Kernel info:
; codeLenInByte = 7552
; NumSgprs: 25
; NumVgprs: 70
; ScratchSize: 0
; MemoryBound: 0
; FloatMode: 240
; IeeeMode: 1
; LDSByteSize: 0 bytes/workgroup (compile time only)
; SGPRBlocks: 3
; VGPRBlocks: 8
; NumSGPRsForWavesPerEU: 25
; NumVGPRsForWavesPerEU: 70
; Occupancy: 12
; WaveLimiterHint : 1
; COMPUTE_PGM_RSRC2:SCRATCH_EN: 0
; COMPUTE_PGM_RSRC2:USER_SGPR: 6
; COMPUTE_PGM_RSRC2:TRAP_HANDLER: 0
; COMPUTE_PGM_RSRC2:TGID_X_EN: 1
; COMPUTE_PGM_RSRC2:TGID_Y_EN: 0
; COMPUTE_PGM_RSRC2:TGID_Z_EN: 0
; COMPUTE_PGM_RSRC2:TIDIG_COMP_CNT: 0
	.text
	.p2alignl 6, 3214868480
	.fill 48, 4, 3214868480
	.type	__hip_cuid_aa1bf8a57699c343,@object ; @__hip_cuid_aa1bf8a57699c343
	.section	.bss,"aw",@nobits
	.globl	__hip_cuid_aa1bf8a57699c343
__hip_cuid_aa1bf8a57699c343:
	.byte	0                               ; 0x0
	.size	__hip_cuid_aa1bf8a57699c343, 1

	.ident	"AMD clang version 19.0.0git (https://github.com/RadeonOpenCompute/llvm-project roc-6.4.0 25133 c7fe45cf4b819c5991fe208aaa96edf142730f1d)"
	.section	".note.GNU-stack","",@progbits
	.addrsig
	.addrsig_sym __hip_cuid_aa1bf8a57699c343
	.amdgpu_metadata
---
amdhsa.kernels:
  - .args:
      - .actual_access:  read_only
        .address_space:  global
        .offset:         0
        .size:           8
        .value_kind:     global_buffer
      - .offset:         8
        .size:           8
        .value_kind:     by_value
      - .actual_access:  read_only
        .address_space:  global
        .offset:         16
        .size:           8
        .value_kind:     global_buffer
      - .actual_access:  read_only
        .address_space:  global
        .offset:         24
        .size:           8
        .value_kind:     global_buffer
      - .offset:         32
        .size:           8
        .value_kind:     by_value
      - .actual_access:  read_only
        .address_space:  global
        .offset:         40
        .size:           8
        .value_kind:     global_buffer
      - .actual_access:  read_only
        .address_space:  global
        .offset:         48
        .size:           8
        .value_kind:     global_buffer
      - .offset:         56
        .size:           4
        .value_kind:     by_value
      - .actual_access:  read_only
        .address_space:  global
        .offset:         64
        .size:           8
        .value_kind:     global_buffer
      - .actual_access:  read_only
        .address_space:  global
        .offset:         72
        .size:           8
        .value_kind:     global_buffer
      - .address_space:  global
        .offset:         80
        .size:           8
        .value_kind:     global_buffer
    .group_segment_fixed_size: 0
    .kernarg_segment_align: 8
    .kernarg_segment_size: 88
    .language:       OpenCL C
    .language_version:
      - 2
      - 0
    .max_flat_workgroup_size: 108
    .name:           fft_rtc_back_len270_factors_10_3_3_3_wgs_108_tpt_27_halfLds_half_ip_CI_sbrr_dirReg
    .private_segment_fixed_size: 0
    .sgpr_count:     25
    .sgpr_spill_count: 0
    .symbol:         fft_rtc_back_len270_factors_10_3_3_3_wgs_108_tpt_27_halfLds_half_ip_CI_sbrr_dirReg.kd
    .uniform_work_group_size: 1
    .uses_dynamic_stack: false
    .vgpr_count:     70
    .vgpr_spill_count: 0
    .wavefront_size: 32
    .workgroup_processor_mode: 1
amdhsa.target:   amdgcn-amd-amdhsa--gfx1030
amdhsa.version:
  - 1
  - 2
...

	.end_amdgpu_metadata
